;; amdgpu-corpus repo=ROCm/rocFFT kind=compiled arch=gfx906 opt=O3
	.text
	.amdgcn_target "amdgcn-amd-amdhsa--gfx906"
	.amdhsa_code_object_version 6
	.protected	fft_rtc_fwd_len27_factors_3_3_3_wgs_252_tpt_9_halfLds_half_op_CI_CI_sbrr_dirReg ; -- Begin function fft_rtc_fwd_len27_factors_3_3_3_wgs_252_tpt_9_halfLds_half_op_CI_CI_sbrr_dirReg
	.globl	fft_rtc_fwd_len27_factors_3_3_3_wgs_252_tpt_9_halfLds_half_op_CI_CI_sbrr_dirReg
	.p2align	8
	.type	fft_rtc_fwd_len27_factors_3_3_3_wgs_252_tpt_9_halfLds_half_op_CI_CI_sbrr_dirReg,@function
fft_rtc_fwd_len27_factors_3_3_3_wgs_252_tpt_9_halfLds_half_op_CI_CI_sbrr_dirReg: ; @fft_rtc_fwd_len27_factors_3_3_3_wgs_252_tpt_9_halfLds_half_op_CI_CI_sbrr_dirReg
; %bb.0:
	s_load_dwordx4 s[16:19], s[4:5], 0x18
	s_load_dwordx4 s[12:15], s[4:5], 0x0
	;; [unrolled: 1-line block ×3, first 2 shown]
	v_mul_u32_u24_e32 v1, 0x1c72, v0
	v_lshrrev_b32_e32 v1, 16, v1
	s_waitcnt lgkmcnt(0)
	s_load_dwordx2 s[20:21], s[16:17], 0x0
	s_load_dwordx2 s[2:3], s[18:19], 0x0
	v_mad_u64_u32 v[3:4], s[0:1], s6, 28, v[1:2]
	v_mov_b32_e32 v9, 0
	v_mov_b32_e32 v4, v9
	v_cmp_lt_u64_e64 s[0:1], s[14:15], 2
	v_mov_b32_e32 v7, 0
	v_mov_b32_e32 v8, 0
	;; [unrolled: 1-line block ×4, first 2 shown]
	s_and_b64 vcc, exec, s[0:1]
	v_mov_b32_e32 v2, v8
	v_mov_b32_e32 v5, v3
	s_cbranch_vccnz .LBB0_8
; %bb.1:
	s_load_dwordx2 s[0:1], s[4:5], 0x10
	s_add_u32 s6, s18, 8
	s_addc_u32 s7, s19, 0
	s_add_u32 s22, s16, 8
	s_addc_u32 s23, s17, 0
	v_mov_b32_e32 v7, 0
	s_waitcnt lgkmcnt(0)
	s_add_u32 s24, s0, 8
	v_mov_b32_e32 v8, 0
	v_mov_b32_e32 v1, v7
	;; [unrolled: 1-line block ×3, first 2 shown]
	s_addc_u32 s25, s1, 0
	s_mov_b64 s[26:27], 1
	v_mov_b32_e32 v2, v8
	v_mov_b32_e32 v11, v3
.LBB0_2:                                ; =>This Inner Loop Header: Depth=1
	s_load_dwordx2 s[28:29], s[24:25], 0x0
                                        ; implicit-def: $vgpr5_vgpr6
	s_waitcnt lgkmcnt(0)
	v_or_b32_e32 v10, s29, v12
	v_cmp_ne_u64_e32 vcc, 0, v[9:10]
	s_and_saveexec_b64 s[0:1], vcc
	s_xor_b64 s[30:31], exec, s[0:1]
	s_cbranch_execz .LBB0_4
; %bb.3:                                ;   in Loop: Header=BB0_2 Depth=1
	v_cvt_f32_u32_e32 v4, s28
	v_cvt_f32_u32_e32 v5, s29
	s_sub_u32 s0, 0, s28
	s_subb_u32 s1, 0, s29
	v_mac_f32_e32 v4, 0x4f800000, v5
	v_rcp_f32_e32 v4, v4
	v_mul_f32_e32 v4, 0x5f7ffffc, v4
	v_mul_f32_e32 v5, 0x2f800000, v4
	v_trunc_f32_e32 v5, v5
	v_mac_f32_e32 v4, 0xcf800000, v5
	v_cvt_u32_f32_e32 v5, v5
	v_cvt_u32_f32_e32 v4, v4
	v_mul_lo_u32 v6, s0, v5
	v_mul_hi_u32 v10, s0, v4
	v_mul_lo_u32 v14, s1, v4
	v_mul_lo_u32 v13, s0, v4
	v_add_u32_e32 v6, v10, v6
	v_add_u32_e32 v6, v6, v14
	v_mul_hi_u32 v10, v4, v13
	v_mul_lo_u32 v14, v4, v6
	v_mul_hi_u32 v16, v4, v6
	v_mul_hi_u32 v15, v5, v13
	v_mul_lo_u32 v13, v5, v13
	v_mul_hi_u32 v17, v5, v6
	v_add_co_u32_e32 v10, vcc, v10, v14
	v_addc_co_u32_e32 v14, vcc, 0, v16, vcc
	v_mul_lo_u32 v6, v5, v6
	v_add_co_u32_e32 v10, vcc, v10, v13
	v_addc_co_u32_e32 v10, vcc, v14, v15, vcc
	v_addc_co_u32_e32 v13, vcc, 0, v17, vcc
	v_add_co_u32_e32 v6, vcc, v10, v6
	v_addc_co_u32_e32 v10, vcc, 0, v13, vcc
	v_add_co_u32_e32 v4, vcc, v4, v6
	v_addc_co_u32_e32 v5, vcc, v5, v10, vcc
	v_mul_lo_u32 v6, s0, v5
	v_mul_hi_u32 v10, s0, v4
	v_mul_lo_u32 v13, s1, v4
	v_mul_lo_u32 v14, s0, v4
	v_add_u32_e32 v6, v10, v6
	v_add_u32_e32 v6, v6, v13
	v_mul_lo_u32 v15, v4, v6
	v_mul_hi_u32 v16, v4, v14
	v_mul_hi_u32 v17, v4, v6
	;; [unrolled: 1-line block ×3, first 2 shown]
	v_mul_lo_u32 v14, v5, v14
	v_mul_hi_u32 v10, v5, v6
	v_add_co_u32_e32 v15, vcc, v16, v15
	v_addc_co_u32_e32 v16, vcc, 0, v17, vcc
	v_mul_lo_u32 v6, v5, v6
	v_add_co_u32_e32 v14, vcc, v15, v14
	v_addc_co_u32_e32 v13, vcc, v16, v13, vcc
	v_addc_co_u32_e32 v10, vcc, 0, v10, vcc
	v_add_co_u32_e32 v6, vcc, v13, v6
	v_addc_co_u32_e32 v10, vcc, 0, v10, vcc
	v_add_co_u32_e32 v6, vcc, v4, v6
	v_addc_co_u32_e32 v10, vcc, v5, v10, vcc
	v_mad_u64_u32 v[4:5], s[0:1], v11, v10, 0
	v_mul_hi_u32 v13, v11, v6
	v_add_co_u32_e32 v15, vcc, v13, v4
	v_addc_co_u32_e32 v16, vcc, 0, v5, vcc
	v_mad_u64_u32 v[4:5], s[0:1], v12, v6, 0
	v_mad_u64_u32 v[13:14], s[0:1], v12, v10, 0
	v_add_co_u32_e32 v4, vcc, v15, v4
	v_addc_co_u32_e32 v4, vcc, v16, v5, vcc
	v_addc_co_u32_e32 v5, vcc, 0, v14, vcc
	v_add_co_u32_e32 v10, vcc, v4, v13
	v_addc_co_u32_e32 v6, vcc, 0, v5, vcc
	v_mul_lo_u32 v13, s29, v10
	v_mul_lo_u32 v14, s28, v6
	v_mad_u64_u32 v[4:5], s[0:1], s28, v10, 0
	v_add3_u32 v5, v5, v14, v13
	v_sub_u32_e32 v13, v12, v5
	v_mov_b32_e32 v14, s29
	v_sub_co_u32_e32 v4, vcc, v11, v4
	v_subb_co_u32_e64 v13, s[0:1], v13, v14, vcc
	v_subrev_co_u32_e64 v14, s[0:1], s28, v4
	v_subbrev_co_u32_e64 v13, s[0:1], 0, v13, s[0:1]
	v_cmp_le_u32_e64 s[0:1], s29, v13
	v_cndmask_b32_e64 v15, 0, -1, s[0:1]
	v_cmp_le_u32_e64 s[0:1], s28, v14
	v_cndmask_b32_e64 v14, 0, -1, s[0:1]
	v_cmp_eq_u32_e64 s[0:1], s29, v13
	v_cndmask_b32_e64 v13, v15, v14, s[0:1]
	v_add_co_u32_e64 v14, s[0:1], 2, v10
	v_addc_co_u32_e64 v15, s[0:1], 0, v6, s[0:1]
	v_add_co_u32_e64 v16, s[0:1], 1, v10
	v_addc_co_u32_e64 v17, s[0:1], 0, v6, s[0:1]
	v_subb_co_u32_e32 v5, vcc, v12, v5, vcc
	v_cmp_ne_u32_e64 s[0:1], 0, v13
	v_cmp_le_u32_e32 vcc, s29, v5
	v_cndmask_b32_e64 v13, v17, v15, s[0:1]
	v_cndmask_b32_e64 v15, 0, -1, vcc
	v_cmp_le_u32_e32 vcc, s28, v4
	v_cndmask_b32_e64 v4, 0, -1, vcc
	v_cmp_eq_u32_e32 vcc, s29, v5
	v_cndmask_b32_e32 v4, v15, v4, vcc
	v_cmp_ne_u32_e32 vcc, 0, v4
	v_cndmask_b32_e64 v4, v16, v14, s[0:1]
	v_cndmask_b32_e32 v6, v6, v13, vcc
	v_cndmask_b32_e32 v5, v10, v4, vcc
.LBB0_4:                                ;   in Loop: Header=BB0_2 Depth=1
	s_andn2_saveexec_b64 s[0:1], s[30:31]
	s_cbranch_execz .LBB0_6
; %bb.5:                                ;   in Loop: Header=BB0_2 Depth=1
	v_cvt_f32_u32_e32 v4, s28
	s_sub_i32 s30, 0, s28
	v_rcp_iflag_f32_e32 v4, v4
	v_mul_f32_e32 v4, 0x4f7ffffe, v4
	v_cvt_u32_f32_e32 v4, v4
	v_mul_lo_u32 v5, s30, v4
	v_mul_hi_u32 v5, v4, v5
	v_add_u32_e32 v4, v4, v5
	v_mul_hi_u32 v4, v11, v4
	v_mul_lo_u32 v5, v4, s28
	v_add_u32_e32 v6, 1, v4
	v_sub_u32_e32 v5, v11, v5
	v_subrev_u32_e32 v10, s28, v5
	v_cmp_le_u32_e32 vcc, s28, v5
	v_cndmask_b32_e32 v5, v5, v10, vcc
	v_cndmask_b32_e32 v4, v4, v6, vcc
	v_add_u32_e32 v6, 1, v4
	v_cmp_le_u32_e32 vcc, s28, v5
	v_cndmask_b32_e32 v5, v4, v6, vcc
	v_mov_b32_e32 v6, v9
.LBB0_6:                                ;   in Loop: Header=BB0_2 Depth=1
	s_or_b64 exec, exec, s[0:1]
	v_mul_lo_u32 v4, v6, s28
	v_mul_lo_u32 v10, v5, s29
	v_mad_u64_u32 v[13:14], s[0:1], v5, s28, 0
	s_load_dwordx2 s[0:1], s[22:23], 0x0
	s_load_dwordx2 s[28:29], s[6:7], 0x0
	v_add3_u32 v4, v14, v10, v4
	v_sub_co_u32_e32 v10, vcc, v11, v13
	v_subb_co_u32_e32 v4, vcc, v12, v4, vcc
	s_waitcnt lgkmcnt(0)
	v_mul_lo_u32 v11, s0, v4
	v_mul_lo_u32 v12, s1, v10
	v_mad_u64_u32 v[7:8], s[0:1], s0, v10, v[7:8]
	s_add_u32 s26, s26, 1
	s_addc_u32 s27, s27, 0
	s_add_u32 s6, s6, 8
	v_mul_lo_u32 v4, s28, v4
	v_mul_lo_u32 v13, s29, v10
	v_mad_u64_u32 v[1:2], s[0:1], s28, v10, v[1:2]
	v_add3_u32 v8, v12, v8, v11
	s_addc_u32 s7, s7, 0
	v_mov_b32_e32 v10, s14
	s_add_u32 s22, s22, 8
	v_mov_b32_e32 v11, s15
	s_addc_u32 s23, s23, 0
	v_cmp_ge_u64_e32 vcc, s[26:27], v[10:11]
	s_add_u32 s24, s24, 8
	v_add3_u32 v2, v13, v2, v4
	s_addc_u32 s25, s25, 0
	s_cbranch_vccnz .LBB0_8
; %bb.7:                                ;   in Loop: Header=BB0_2 Depth=1
	v_mov_b32_e32 v12, v6
	v_mov_b32_e32 v11, v5
	s_branch .LBB0_2
.LBB0_8:
	s_load_dwordx2 s[0:1], s[4:5], 0x28
	s_lshl_b64 s[14:15], s[14:15], 3
	s_add_u32 s4, s18, s14
	s_addc_u32 s5, s19, s15
                                        ; implicit-def: $sgpr18
                                        ; implicit-def: $vgpr4
	s_waitcnt lgkmcnt(0)
	v_cmp_gt_u64_e32 vcc, s[0:1], v[5:6]
	v_cmp_le_u64_e64 s[0:1], s[0:1], v[5:6]
	s_and_saveexec_b64 s[6:7], s[0:1]
	s_xor_b64 s[0:1], exec, s[6:7]
; %bb.9:
	s_mov_b32 s6, 0x1c71c71d
	v_mul_hi_u32 v4, v0, s6
	s_mov_b32 s18, 0
                                        ; implicit-def: $vgpr7_vgpr8
	v_mul_u32_u24_e32 v4, 9, v4
	v_sub_u32_e32 v4, v0, v4
                                        ; implicit-def: $vgpr0
; %bb.10:
	s_or_saveexec_b64 s[6:7], s[0:1]
	v_mov_b32_e32 v9, s18
                                        ; implicit-def: $vgpr12
                                        ; implicit-def: $vgpr11
                                        ; implicit-def: $vgpr13
                                        ; implicit-def: $vgpr10
                                        ; implicit-def: $vgpr14
                                        ; implicit-def: $vgpr15
	s_xor_b64 exec, exec, s[6:7]
	s_cbranch_execz .LBB0_12
; %bb.11:
	s_add_u32 s0, s16, s14
	s_mov_b32 s14, 0x1c71c71d
	v_mul_hi_u32 v4, v0, s14
	s_addc_u32 s1, s17, s15
	s_load_dwordx2 s[0:1], s[0:1], 0x0
	v_lshlrev_b64 v[7:8], 2, v[7:8]
	v_mul_u32_u24_e32 v4, 9, v4
	v_sub_u32_e32 v4, v0, v4
	v_mad_u64_u32 v[9:10], s[14:15], s20, v4, 0
	s_waitcnt lgkmcnt(0)
	v_mul_lo_u32 v15, s1, v5
	v_mul_lo_u32 v16, s0, v6
	v_mad_u64_u32 v[11:12], s[0:1], s0, v5, 0
	v_mov_b32_e32 v0, v10
	v_mad_u64_u32 v[13:14], s[0:1], s21, v4, v[0:1]
	v_add3_u32 v12, v12, v16, v15
	v_lshlrev_b64 v[11:12], 2, v[11:12]
	v_mov_b32_e32 v10, v13
	v_mov_b32_e32 v0, s9
	v_add_co_u32_e64 v13, s[0:1], s8, v11
	v_add_u32_e32 v14, 9, v4
	v_addc_co_u32_e64 v0, s[0:1], v0, v12, s[0:1]
	v_mad_u64_u32 v[11:12], s[0:1], s20, v14, 0
	v_add_co_u32_e64 v15, s[0:1], v13, v7
	v_addc_co_u32_e64 v18, s[0:1], v0, v8, s[0:1]
	v_mov_b32_e32 v0, v12
	v_add_u32_e32 v16, 18, v4
	v_lshlrev_b64 v[7:8], 2, v[9:10]
	v_mad_u64_u32 v[9:10], s[0:1], s21, v14, v[0:1]
	v_mad_u64_u32 v[13:14], s[0:1], s20, v16, 0
	v_add_co_u32_e64 v7, s[0:1], v15, v7
	v_mov_b32_e32 v12, v9
	v_mov_b32_e32 v0, v14
	v_addc_co_u32_e64 v8, s[0:1], v18, v8, s[0:1]
	v_lshlrev_b64 v[9:10], 2, v[11:12]
	v_mad_u64_u32 v[11:12], s[0:1], s21, v16, v[0:1]
	v_add_co_u32_e64 v16, s[0:1], v15, v9
	v_mov_b32_e32 v14, v11
	v_addc_co_u32_e64 v17, s[0:1], v18, v10, s[0:1]
	v_lshlrev_b64 v[9:10], 2, v[13:14]
	v_add_co_u32_e64 v12, s[0:1], v15, v9
	v_addc_co_u32_e64 v13, s[0:1], v18, v10, s[0:1]
	global_load_dword v15, v[7:8], off
	global_load_dword v10, v[16:17], off
	;; [unrolled: 1-line block ×3, first 2 shown]
	v_mov_b32_e32 v9, v4
	s_waitcnt vmcnt(2)
	v_lshrrev_b32_e32 v14, 16, v15
	s_waitcnt vmcnt(1)
	v_lshrrev_b32_e32 v13, 16, v10
	;; [unrolled: 2-line block ×3, first 2 shown]
.LBB0_12:
	s_or_b64 exec, exec, s[6:7]
	v_lshrrev_b32_e32 v0, 2, v3
	s_mov_b32 s0, 0x24924925
	v_mul_hi_u32 v0, v0, s0
	v_add_f16_e32 v8, v11, v10
	s_load_dwordx2 s[0:1], s[4:5], 0x0
	v_fma_f16 v8, v8, -0.5, v15
	v_mul_lo_u32 v0, v0, 28
	s_movk_i32 s4, 0x3aee
	s_mov_b32 s5, 0xbaee
	v_add_f16_e32 v7, v10, v15
	v_sub_u32_e32 v0, v3, v0
	v_sub_f16_e32 v3, v13, v12
	v_fma_f16 v15, v3, s4, v8
	v_fma_f16 v3, v3, s5, v8
	v_add_f16_e32 v8, v13, v14
	v_add_f16_e32 v8, v12, v8
	;; [unrolled: 1-line block ×3, first 2 shown]
	v_mul_u32_u24_e32 v0, 27, v0
	v_fma_f16 v12, v12, -0.5, v14
	v_sub_f16_e32 v10, v10, v11
	v_add_f16_e32 v7, v11, v7
	v_fma_f16 v11, v10, s5, v12
	v_fma_f16 v10, v10, s4, v12
	v_lshlrev_b32_e32 v12, 1, v0
	v_add_u32_e32 v0, 0, v12
	v_mad_u32_u24 v13, v4, 6, v0
	s_movk_i32 s6, 0xab
	ds_write_b16 v13, v7
	ds_write_b16 v13, v15 offset:2
	ds_write_b16 v13, v3 offset:4
	v_lshl_add_u32 v0, v4, 1, v0
	v_lshlrev_b32_e32 v3, 2, v4
	v_mul_lo_u16_sdwa v7, v4, s6 dst_sel:DWORD dst_unused:UNUSED_PAD src0_sel:BYTE_0 src1_sel:DWORD
	s_waitcnt lgkmcnt(0)
	s_barrier
	v_sub_u32_e32 v3, v13, v3
	ds_read_u16 v14, v0
	ds_read_u16 v15, v3 offset:18
	ds_read_u16 v16, v3 offset:36
	s_waitcnt lgkmcnt(0)
	s_barrier
	ds_write_b16 v13, v8
	ds_write_b16 v13, v11 offset:2
	ds_write_b16 v13, v10 offset:4
	v_lshrrev_b16_e32 v10, 9, v7
	v_mul_lo_u16_e32 v7, 3, v10
	v_sub_u16_e32 v11, v4, v7
	v_mov_b32_e32 v7, 3
	v_lshlrev_b32_sdwa v7, v7, v11 dst_sel:DWORD dst_unused:UNUSED_PAD src0_sel:DWORD src1_sel:BYTE_0
	s_waitcnt lgkmcnt(0)
	s_barrier
	global_load_dwordx2 v[7:8], v7, s[12:13]
	v_mov_b32_e32 v13, 1
	v_mad_u32_u24 v10, v10, 18, 0
	v_lshlrev_b32_sdwa v11, v13, v11 dst_sel:DWORD dst_unused:UNUSED_PAD src0_sel:DWORD src1_sel:BYTE_0
	v_add3_u32 v11, v10, v11, v12
	ds_read_u16 v10, v0
	ds_read_u16 v12, v3 offset:18
	ds_read_u16 v13, v3 offset:36
	s_waitcnt vmcnt(0) lgkmcnt(0)
	s_barrier
	v_mul_f16_sdwa v17, v12, v7 dst_sel:DWORD dst_unused:UNUSED_PAD src0_sel:DWORD src1_sel:WORD_1
	v_mul_f16_sdwa v18, v15, v7 dst_sel:DWORD dst_unused:UNUSED_PAD src0_sel:DWORD src1_sel:WORD_1
	;; [unrolled: 1-line block ×4, first 2 shown]
	v_fma_f16 v15, v15, v7, -v17
	v_fma_f16 v7, v12, v7, v18
	v_fma_f16 v12, v16, v8, -v19
	v_fma_f16 v8, v13, v8, v20
	v_add_f16_e32 v13, v14, v15
	v_add_f16_e32 v16, v15, v12
	v_sub_f16_e32 v17, v7, v8
	v_add_f16_e32 v18, v10, v7
	v_add_f16_e32 v7, v7, v8
	v_sub_f16_e32 v15, v15, v12
	v_add_f16_e32 v12, v13, v12
	v_fma_f16 v13, v16, -0.5, v14
	v_add_f16_e32 v14, v18, v8
	v_fma_f16 v7, v7, -0.5, v10
	v_fma_f16 v8, v17, s4, v13
	v_fma_f16 v10, v17, s5, v13
	;; [unrolled: 1-line block ×4, first 2 shown]
	ds_write_b16 v11, v12
	ds_write_b16 v11, v8 offset:6
	ds_write_b16 v11, v10 offset:12
	s_waitcnt lgkmcnt(0)
	s_barrier
	ds_read_u16 v7, v0
	ds_read_u16 v8, v3 offset:18
	ds_read_u16 v10, v3 offset:36
	s_waitcnt lgkmcnt(0)
	s_barrier
	ds_write_b16 v11, v14
	ds_write_b16 v11, v13 offset:6
	ds_write_b16 v11, v15 offset:12
	s_waitcnt lgkmcnt(0)
	s_barrier
	s_and_saveexec_b64 s[6:7], vcc
	s_cbranch_execz .LBB0_14
; %bb.13:
	v_lshlrev_b32_e32 v11, 1, v4
	v_mov_b32_e32 v12, 0
	v_lshlrev_b64 v[11:12], 2, v[11:12]
	v_mov_b32_e32 v4, s13
	v_add_co_u32_e32 v11, vcc, s12, v11
	v_addc_co_u32_e32 v12, vcc, v4, v12, vcc
	global_load_dwordx2 v[11:12], v[11:12], off offset:24
	v_mul_lo_u32 v17, s1, v5
	v_mul_lo_u32 v6, s0, v6
	v_mad_u64_u32 v[4:5], s[0:1], s0, v5, 0
	v_add_u32_e32 v19, 9, v9
	v_mad_u64_u32 v[15:16], s[0:1], s2, v19, 0
	v_mad_u64_u32 v[13:14], s[0:1], s2, v9, 0
	v_add3_u32 v5, v5, v6, v17
	v_lshlrev_b64 v[4:5], 2, v[4:5]
	v_mov_b32_e32 v6, v16
	v_mov_b32_e32 v18, s11
	v_lshlrev_b64 v[1:2], 2, v[1:2]
	v_mad_u64_u32 v[16:17], s[0:1], s3, v19, v[6:7]
	v_add_co_u32_e32 v6, vcc, s10, v4
	v_mov_b32_e32 v4, v14
	v_addc_co_u32_e32 v17, vcc, v18, v5, vcc
	v_mad_u64_u32 v[4:5], s[0:1], s3, v9, v[4:5]
	v_add_u32_e32 v5, 18, v9
	v_add_co_u32_e32 v9, vcc, v6, v1
	v_addc_co_u32_e32 v17, vcc, v17, v2, vcc
	v_mad_u64_u32 v[1:2], s[0:1], s2, v5, 0
	v_mov_b32_e32 v14, v4
	ds_read_u16 v18, v3 offset:36
	ds_read_u16 v19, v3 offset:18
	ds_read_u16 v20, v0
	v_mad_u64_u32 v[4:5], s[0:1], s3, v5, v[2:3]
	v_lshlrev_b64 v[5:6], 2, v[13:14]
	v_mov_b32_e32 v2, v4
	v_lshlrev_b64 v[3:4], 2, v[15:16]
	v_add_co_u32_e32 v5, vcc, v9, v5
	v_addc_co_u32_e32 v6, vcc, v17, v6, vcc
	v_lshlrev_b64 v[0:1], 2, v[1:2]
	v_add_co_u32_e32 v2, vcc, v9, v3
	v_addc_co_u32_e32 v3, vcc, v17, v4, vcc
	v_add_co_u32_e32 v0, vcc, v9, v0
	v_addc_co_u32_e32 v1, vcc, v17, v1, vcc
	s_waitcnt vmcnt(0) lgkmcnt(1)
	v_mul_f16_sdwa v4, v19, v11 dst_sel:DWORD dst_unused:UNUSED_PAD src0_sel:DWORD src1_sel:WORD_1
	v_mul_f16_sdwa v9, v18, v12 dst_sel:DWORD dst_unused:UNUSED_PAD src0_sel:DWORD src1_sel:WORD_1
	;; [unrolled: 1-line block ×4, first 2 shown]
	v_fma_f16 v4, v8, v11, -v4
	v_fma_f16 v8, v10, v12, -v9
	v_fma_f16 v9, v11, v19, v13
	v_fma_f16 v10, v12, v18, v14
	v_sub_f16_e32 v11, v4, v8
	v_add_f16_e32 v12, v9, v10
	s_waitcnt lgkmcnt(0)
	v_add_f16_e32 v13, v9, v20
	v_add_f16_e32 v14, v4, v8
	;; [unrolled: 1-line block ×3, first 2 shown]
	v_sub_f16_e32 v9, v9, v10
	v_fma_f16 v12, v12, -0.5, v20
	v_add_f16_e32 v10, v10, v13
	v_fma_f16 v7, v14, -0.5, v7
	v_add_f16_e32 v4, v4, v8
	v_fma_f16 v8, v11, s4, v12
	v_fma_f16 v11, v11, s5, v12
	;; [unrolled: 1-line block ×4, first 2 shown]
	v_pack_b32_f16 v4, v4, v10
	global_store_dword v[5:6], v4, off
	v_pack_b32_f16 v4, v7, v11
	v_pack_b32_f16 v5, v12, v8
	global_store_dword v[2:3], v4, off
	global_store_dword v[0:1], v5, off
.LBB0_14:
	s_endpgm
	.section	.rodata,"a",@progbits
	.p2align	6, 0x0
	.amdhsa_kernel fft_rtc_fwd_len27_factors_3_3_3_wgs_252_tpt_9_halfLds_half_op_CI_CI_sbrr_dirReg
		.amdhsa_group_segment_fixed_size 0
		.amdhsa_private_segment_fixed_size 0
		.amdhsa_kernarg_size 104
		.amdhsa_user_sgpr_count 6
		.amdhsa_user_sgpr_private_segment_buffer 1
		.amdhsa_user_sgpr_dispatch_ptr 0
		.amdhsa_user_sgpr_queue_ptr 0
		.amdhsa_user_sgpr_kernarg_segment_ptr 1
		.amdhsa_user_sgpr_dispatch_id 0
		.amdhsa_user_sgpr_flat_scratch_init 0
		.amdhsa_user_sgpr_private_segment_size 0
		.amdhsa_uses_dynamic_stack 0
		.amdhsa_system_sgpr_private_segment_wavefront_offset 0
		.amdhsa_system_sgpr_workgroup_id_x 1
		.amdhsa_system_sgpr_workgroup_id_y 0
		.amdhsa_system_sgpr_workgroup_id_z 0
		.amdhsa_system_sgpr_workgroup_info 0
		.amdhsa_system_vgpr_workitem_id 0
		.amdhsa_next_free_vgpr 21
		.amdhsa_next_free_sgpr 32
		.amdhsa_reserve_vcc 1
		.amdhsa_reserve_flat_scratch 0
		.amdhsa_float_round_mode_32 0
		.amdhsa_float_round_mode_16_64 0
		.amdhsa_float_denorm_mode_32 3
		.amdhsa_float_denorm_mode_16_64 3
		.amdhsa_dx10_clamp 1
		.amdhsa_ieee_mode 1
		.amdhsa_fp16_overflow 0
		.amdhsa_exception_fp_ieee_invalid_op 0
		.amdhsa_exception_fp_denorm_src 0
		.amdhsa_exception_fp_ieee_div_zero 0
		.amdhsa_exception_fp_ieee_overflow 0
		.amdhsa_exception_fp_ieee_underflow 0
		.amdhsa_exception_fp_ieee_inexact 0
		.amdhsa_exception_int_div_zero 0
	.end_amdhsa_kernel
	.text
.Lfunc_end0:
	.size	fft_rtc_fwd_len27_factors_3_3_3_wgs_252_tpt_9_halfLds_half_op_CI_CI_sbrr_dirReg, .Lfunc_end0-fft_rtc_fwd_len27_factors_3_3_3_wgs_252_tpt_9_halfLds_half_op_CI_CI_sbrr_dirReg
                                        ; -- End function
	.section	.AMDGPU.csdata,"",@progbits
; Kernel info:
; codeLenInByte = 2604
; NumSgprs: 36
; NumVgprs: 21
; ScratchSize: 0
; MemoryBound: 0
; FloatMode: 240
; IeeeMode: 1
; LDSByteSize: 0 bytes/workgroup (compile time only)
; SGPRBlocks: 4
; VGPRBlocks: 5
; NumSGPRsForWavesPerEU: 36
; NumVGPRsForWavesPerEU: 21
; Occupancy: 10
; WaveLimiterHint : 1
; COMPUTE_PGM_RSRC2:SCRATCH_EN: 0
; COMPUTE_PGM_RSRC2:USER_SGPR: 6
; COMPUTE_PGM_RSRC2:TRAP_HANDLER: 0
; COMPUTE_PGM_RSRC2:TGID_X_EN: 1
; COMPUTE_PGM_RSRC2:TGID_Y_EN: 0
; COMPUTE_PGM_RSRC2:TGID_Z_EN: 0
; COMPUTE_PGM_RSRC2:TIDIG_COMP_CNT: 0
	.type	__hip_cuid_86138107c27361b3,@object ; @__hip_cuid_86138107c27361b3
	.section	.bss,"aw",@nobits
	.globl	__hip_cuid_86138107c27361b3
__hip_cuid_86138107c27361b3:
	.byte	0                               ; 0x0
	.size	__hip_cuid_86138107c27361b3, 1

	.ident	"AMD clang version 19.0.0git (https://github.com/RadeonOpenCompute/llvm-project roc-6.4.0 25133 c7fe45cf4b819c5991fe208aaa96edf142730f1d)"
	.section	".note.GNU-stack","",@progbits
	.addrsig
	.addrsig_sym __hip_cuid_86138107c27361b3
	.amdgpu_metadata
---
amdhsa.kernels:
  - .args:
      - .actual_access:  read_only
        .address_space:  global
        .offset:         0
        .size:           8
        .value_kind:     global_buffer
      - .offset:         8
        .size:           8
        .value_kind:     by_value
      - .actual_access:  read_only
        .address_space:  global
        .offset:         16
        .size:           8
        .value_kind:     global_buffer
      - .actual_access:  read_only
        .address_space:  global
        .offset:         24
        .size:           8
        .value_kind:     global_buffer
      - .actual_access:  read_only
        .address_space:  global
        .offset:         32
        .size:           8
        .value_kind:     global_buffer
      - .offset:         40
        .size:           8
        .value_kind:     by_value
      - .actual_access:  read_only
        .address_space:  global
        .offset:         48
        .size:           8
        .value_kind:     global_buffer
      - .actual_access:  read_only
        .address_space:  global
        .offset:         56
        .size:           8
        .value_kind:     global_buffer
      - .offset:         64
        .size:           4
        .value_kind:     by_value
      - .actual_access:  read_only
        .address_space:  global
        .offset:         72
        .size:           8
        .value_kind:     global_buffer
      - .actual_access:  read_only
        .address_space:  global
        .offset:         80
        .size:           8
        .value_kind:     global_buffer
      - .actual_access:  read_only
        .address_space:  global
        .offset:         88
        .size:           8
        .value_kind:     global_buffer
      - .actual_access:  write_only
        .address_space:  global
        .offset:         96
        .size:           8
        .value_kind:     global_buffer
    .group_segment_fixed_size: 0
    .kernarg_segment_align: 8
    .kernarg_segment_size: 104
    .language:       OpenCL C
    .language_version:
      - 2
      - 0
    .max_flat_workgroup_size: 252
    .name:           fft_rtc_fwd_len27_factors_3_3_3_wgs_252_tpt_9_halfLds_half_op_CI_CI_sbrr_dirReg
    .private_segment_fixed_size: 0
    .sgpr_count:     36
    .sgpr_spill_count: 0
    .symbol:         fft_rtc_fwd_len27_factors_3_3_3_wgs_252_tpt_9_halfLds_half_op_CI_CI_sbrr_dirReg.kd
    .uniform_work_group_size: 1
    .uses_dynamic_stack: false
    .vgpr_count:     21
    .vgpr_spill_count: 0
    .wavefront_size: 64
amdhsa.target:   amdgcn-amd-amdhsa--gfx906
amdhsa.version:
  - 1
  - 2
...

	.end_amdgpu_metadata
